;; amdgpu-corpus repo=ROCm/rocFFT kind=compiled arch=gfx1201 opt=O3
	.text
	.amdgcn_target "amdgcn-amd-amdhsa--gfx1201"
	.amdhsa_code_object_version 6
	.protected	fft_rtc_fwd_len128_factors_8_2_8_wgs_128_tpt_16_dim1_dp_ip_CI_unitstride_sbrr_R2C_dirReg ; -- Begin function fft_rtc_fwd_len128_factors_8_2_8_wgs_128_tpt_16_dim1_dp_ip_CI_unitstride_sbrr_R2C_dirReg
	.globl	fft_rtc_fwd_len128_factors_8_2_8_wgs_128_tpt_16_dim1_dp_ip_CI_unitstride_sbrr_R2C_dirReg
	.p2align	8
	.type	fft_rtc_fwd_len128_factors_8_2_8_wgs_128_tpt_16_dim1_dp_ip_CI_unitstride_sbrr_R2C_dirReg,@function
fft_rtc_fwd_len128_factors_8_2_8_wgs_128_tpt_16_dim1_dp_ip_CI_unitstride_sbrr_R2C_dirReg: ; @fft_rtc_fwd_len128_factors_8_2_8_wgs_128_tpt_16_dim1_dp_ip_CI_unitstride_sbrr_R2C_dirReg
; %bb.0:
	s_load_b128 s[4:7], s[0:1], 0x10
	v_lshrrev_b32_e32 v4, 4, v0
	v_mov_b32_e32 v11, 0
	v_and_b32_e32 v15, 15, v0
	s_load_b64 s[2:3], s[0:1], 0x48
	s_delay_alu instid0(VALU_DEP_3) | instskip(NEXT) | instid1(VALU_DEP_2)
	v_lshl_or_b32 v10, ttmp9, 3, v4
	v_or_b32_e32 v7, 16, v15
	v_or_b32_e32 v9, 32, v15
	v_or_b32_e32 v6, 48, v15
	v_or_b32_e32 v8, 0x60, v15
	s_wait_kmcnt 0x0
	s_load_b64 s[8:9], s[4:5], 0x8
	s_load_b64 s[4:5], s[0:1], 0x0
	v_cmp_gt_u64_e32 vcc_lo, s[6:7], v[10:11]
	v_cmp_le_u64_e64 s0, s[6:7], v[10:11]
	v_or_b32_e32 v11, 64, v15
	s_wait_kmcnt 0x0
	v_mad_co_u64_u32 v[1:2], null, s8, v10, 0
	s_delay_alu instid0(VALU_DEP_1)
	v_mad_co_u64_u32 v[2:3], null, s9, v10, v[2:3]
	v_or_b32_e32 v10, 0x50, v15
	v_or_b32_e32 v3, 0x70, v15
	s_and_saveexec_b32 s1, s0
	s_wait_alu 0xfffe
	s_xor_b32 s0, exec_lo, s1
; %bb.1:
	v_or_b32_e32 v7, 16, v15
	v_or_b32_e32 v9, 32, v15
	;; [unrolled: 1-line block ×7, first 2 shown]
; %bb.2:
	s_wait_alu 0xfffe
	s_or_saveexec_b32 s1, s0
	v_mul_u32_u24_e32 v12, 0x81, v4
	v_lshlrev_b64_e32 v[4:5], 4, v[1:2]
	v_lshlrev_b32_e32 v16, 4, v15
	s_delay_alu instid0(VALU_DEP_3)
	v_lshlrev_b32_e32 v1, 4, v12
	s_wait_alu 0xfffe
	s_xor_b32 exec_lo, exec_lo, s1
	s_cbranch_execz .LBB0_4
; %bb.3:
	v_add_co_u32 v2, s0, s2, v4
	s_wait_alu 0xf1ff
	v_add_co_ci_u32_e64 v13, s0, s3, v5, s0
	s_delay_alu instid0(VALU_DEP_2) | instskip(SKIP_1) | instid1(VALU_DEP_2)
	v_add_co_u32 v12, s0, v2, v16
	s_wait_alu 0xf1ff
	v_add_co_ci_u32_e64 v13, s0, 0, v13, s0
	v_add3_u32 v2, 0, v1, v16
	s_clause 0x7
	global_load_b128 v[17:20], v[12:13], off
	global_load_b128 v[21:24], v[12:13], off offset:256
	global_load_b128 v[25:28], v[12:13], off offset:512
	;; [unrolled: 1-line block ×7, first 2 shown]
	s_wait_loadcnt 0x7
	ds_store_b128 v2, v[17:20]
	s_wait_loadcnt 0x6
	ds_store_b128 v2, v[21:24] offset:256
	s_wait_loadcnt 0x5
	ds_store_b128 v2, v[25:28] offset:512
	;; [unrolled: 2-line block ×7, first 2 shown]
.LBB0_4:
	s_or_b32 exec_lo, exec_lo, s1
	v_add_nc_u32_e32 v18, 0, v1
	v_add3_u32 v1, 0, v16, v1
	global_wb scope:SCOPE_SE
	s_wait_dscnt 0x0
	s_barrier_signal -1
	s_barrier_wait -1
	v_add_nc_u32_e32 v17, v18, v16
	global_inv scope:SCOPE_SE
	ds_load_b128 v[19:22], v1 offset:1536
	ds_load_b128 v[23:26], v1 offset:512
	;; [unrolled: 1-line block ×4, first 2 shown]
	ds_load_b128 v[35:38], v17
	ds_load_b128 v[39:42], v1 offset:1024
	ds_load_b128 v[43:46], v1 offset:1280
	;; [unrolled: 1-line block ×3, first 2 shown]
	s_mov_b32 s0, 0x667f3bcd
	s_mov_b32 s1, 0xbfe6a09e
	;; [unrolled: 1-line block ×3, first 2 shown]
	s_wait_alu 0xfffe
	s_mov_b32 s6, s0
	v_and_b32_e32 v2, 7, v0
	global_wb scope:SCOPE_SE
	s_wait_dscnt 0x0
	s_barrier_signal -1
	s_barrier_wait -1
	global_inv scope:SCOPE_SE
	v_lshlrev_b32_e32 v0, 1, v0
	v_lshlrev_b32_e32 v14, 1, v6
	v_lshl_add_u32 v3, v3, 4, v18
	v_lshl_add_u32 v8, v8, 4, v18
	v_add_f64_e64 v[12:13], v[23:24], -v[19:20]
	v_add_f64_e64 v[19:20], v[25:26], -v[21:22]
	;; [unrolled: 1-line block ×8, first 2 shown]
	v_and_or_b32 v0, v0, 16, v2
	s_delay_alu instid0(VALU_DEP_1)
	v_lshl_add_u32 v0, v0, 4, v18
	v_fma_f64 v[23:24], v[23:24], 2.0, -v[12:13]
	v_fma_f64 v[25:26], v[25:26], 2.0, -v[19:20]
	;; [unrolled: 1-line block ×6, first 2 shown]
	v_add_f64_e64 v[45:46], v[33:34], -v[19:20]
	v_fma_f64 v[19:20], v[47:48], 2.0, -v[41:42]
	v_fma_f64 v[47:48], v[49:50], 2.0, -v[43:44]
	v_add_f64_e32 v[12:13], v[39:40], v[12:13]
	v_add_f64_e64 v[31:32], v[41:42], -v[31:32]
	v_add_f64_e32 v[49:50], v[43:44], v[21:22]
	v_add_f64_e64 v[51:52], v[35:36], -v[23:24]
	v_add_f64_e64 v[53:54], v[37:38], -v[25:26]
	v_fma_f64 v[55:56], v[33:34], 2.0, -v[45:46]
	v_add_f64_e64 v[21:22], v[19:20], -v[27:28]
	v_add_f64_e64 v[23:24], v[47:48], -v[29:30]
	v_fma_f64 v[57:58], v[39:40], 2.0, -v[12:13]
	v_fma_f64 v[33:34], v[41:42], 2.0, -v[31:32]
	;; [unrolled: 1-line block ×3, first 2 shown]
	s_wait_alu 0xfffe
	v_fma_f64 v[25:26], v[31:32], s[6:7], v[45:46]
	v_fma_f64 v[27:28], v[49:50], s[6:7], v[12:13]
	v_fma_f64 v[43:44], v[35:36], 2.0, -v[51:52]
	v_fma_f64 v[59:60], v[37:38], 2.0, -v[53:54]
	v_fma_f64 v[29:30], v[19:20], 2.0, -v[21:22]
	v_fma_f64 v[35:36], v[47:48], 2.0, -v[23:24]
	v_add_f64_e64 v[19:20], v[51:52], -v[23:24]
	v_fma_f64 v[37:38], v[33:34], s[0:1], v[55:56]
	v_fma_f64 v[41:42], v[39:40], s[0:1], v[57:58]
	v_add_f64_e32 v[21:22], v[53:54], v[21:22]
	v_fma_f64 v[23:24], v[49:50], s[0:1], v[25:26]
	v_fma_f64 v[25:26], v[31:32], s[6:7], v[27:28]
	v_add_f64_e64 v[27:28], v[43:44], -v[29:30]
	v_add_f64_e64 v[29:30], v[59:60], -v[35:36]
	v_fma_f64 v[35:36], v[51:52], 2.0, -v[19:20]
	v_fma_f64 v[31:32], v[39:40], s[0:1], v[37:38]
	v_fma_f64 v[33:34], v[33:34], s[6:7], v[41:42]
	v_fma_f64 v[37:38], v[53:54], 2.0, -v[21:22]
	v_fma_f64 v[39:40], v[45:46], 2.0, -v[23:24]
	;; [unrolled: 1-line block ×3, first 2 shown]
	v_mad_u32_u24 v12, 0x70, v15, v1
	v_lshlrev_b32_e32 v13, 4, v2
	v_fma_f64 v[43:44], v[43:44], 2.0, -v[27:28]
	v_fma_f64 v[45:46], v[59:60], 2.0, -v[29:30]
	;; [unrolled: 1-line block ×4, first 2 shown]
	ds_store_b128 v12, v[19:22] offset:96
	ds_store_b128 v12, v[23:26] offset:112
	;; [unrolled: 1-line block ×6, first 2 shown]
	ds_store_b128 v12, v[43:46]
	ds_store_b128 v12, v[47:50] offset:16
	global_wb scope:SCOPE_SE
	s_wait_dscnt 0x0
	s_barrier_signal -1
	s_barrier_wait -1
	global_inv scope:SCOPE_SE
	global_load_b128 v[19:22], v13, s[4:5]
	ds_load_b128 v[23:26], v1 offset:1024
	ds_load_b128 v[27:30], v1 offset:1280
	;; [unrolled: 1-line block ×4, first 2 shown]
	s_wait_loadcnt_dscnt 0x3
	v_mul_f64_e32 v[12:13], v[25:26], v[21:22]
	v_mul_f64_e32 v[39:40], v[23:24], v[21:22]
	s_wait_dscnt 0x2
	v_mul_f64_e32 v[41:42], v[29:30], v[21:22]
	v_mul_f64_e32 v[43:44], v[27:28], v[21:22]
	s_wait_dscnt 0x1
	;; [unrolled: 3-line block ×3, first 2 shown]
	v_mul_f64_e32 v[49:50], v[37:38], v[21:22]
	v_mul_f64_e32 v[21:22], v[35:36], v[21:22]
	v_fma_f64 v[12:13], v[23:24], v[19:20], -v[12:13]
	v_fma_f64 v[51:52], v[25:26], v[19:20], v[39:40]
	v_fma_f64 v[53:54], v[27:28], v[19:20], -v[41:42]
	v_fma_f64 v[55:56], v[29:30], v[19:20], v[43:44]
	;; [unrolled: 2-line block ×4, first 2 shown]
	v_lshl_add_u32 v21, v7, 4, v18
	v_lshl_add_u32 v20, v9, 4, v18
	ds_load_b128 v[22:25], v17
	v_lshl_add_u32 v19, v6, 4, v18
	ds_load_b128 v[26:29], v21
	ds_load_b128 v[30:33], v20
	;; [unrolled: 1-line block ×3, first 2 shown]
	global_wb scope:SCOPE_SE
	s_wait_dscnt 0x0
	s_barrier_signal -1
	s_barrier_wait -1
	global_inv scope:SCOPE_SE
	v_add_f64_e64 v[38:39], v[22:23], -v[12:13]
	v_add_f64_e64 v[40:41], v[24:25], -v[51:52]
	;; [unrolled: 1-line block ×8, first 2 shown]
	v_lshlrev_b32_e32 v12, 1, v7
	v_lshlrev_b32_e32 v13, 1, v9
	v_mul_u32_u24_e32 v54, 7, v15
	s_delay_alu instid0(VALU_DEP_3) | instskip(NEXT) | instid1(VALU_DEP_3)
	v_and_or_b32 v12, v12, 48, v2
	v_and_or_b32 v13, 0x50, v13, v2
	;; [unrolled: 1-line block ×3, first 2 shown]
	s_delay_alu instid0(VALU_DEP_4) | instskip(NEXT) | instid1(VALU_DEP_4)
	v_lshlrev_b32_e32 v14, 4, v54
	v_lshl_add_u32 v12, v12, 4, v18
	s_delay_alu instid0(VALU_DEP_4) | instskip(NEXT) | instid1(VALU_DEP_4)
	v_lshl_add_u32 v13, v13, 4, v18
	v_lshl_add_u32 v2, v2, 4, v18
	v_fma_f64 v[22:23], v[22:23], 2.0, -v[38:39]
	v_fma_f64 v[24:25], v[24:25], 2.0, -v[40:41]
	;; [unrolled: 1-line block ×8, first 2 shown]
	ds_store_b128 v0, v[22:25]
	ds_store_b128 v0, v[38:41] offset:128
	ds_store_b128 v12, v[26:29]
	ds_store_b128 v12, v[42:45] offset:128
	;; [unrolled: 2-line block ×4, first 2 shown]
	global_wb scope:SCOPE_SE
	s_wait_dscnt 0x0
	s_barrier_signal -1
	s_barrier_wait -1
	global_inv scope:SCOPE_SE
	s_clause 0x6
	global_load_b128 v[22:25], v14, s[4:5] offset:128
	global_load_b128 v[26:29], v14, s[4:5] offset:144
	;; [unrolled: 1-line block ×7, first 2 shown]
	ds_load_b128 v[50:53], v21
	ds_load_b128 v[54:57], v20
	ds_load_b128 v[58:61], v1 offset:1792
	ds_load_b128 v[62:65], v19
	ds_load_b128 v[66:69], v1 offset:1024
	ds_load_b128 v[70:73], v1 offset:1536
	;; [unrolled: 1-line block ×3, first 2 shown]
	v_lshl_add_u32 v0, v11, 4, v18
	v_lshl_add_u32 v2, v10, 4, v18
	s_wait_loadcnt_dscnt 0x606
	v_mul_f64_e32 v[12:13], v[52:53], v[24:25]
	v_mul_f64_e32 v[24:25], v[50:51], v[24:25]
	s_wait_loadcnt_dscnt 0x505
	v_mul_f64_e32 v[78:79], v[56:57], v[28:29]
	v_mul_f64_e32 v[28:29], v[54:55], v[28:29]
	;; [unrolled: 3-line block ×4, first 2 shown]
	s_wait_loadcnt_dscnt 0x201
	v_mul_f64_e32 v[84:85], v[72:73], v[40:41]
	v_fma_f64 v[12:13], v[50:51], v[22:23], -v[12:13]
	v_fma_f64 v[50:51], v[52:53], v[22:23], v[24:25]
	v_mul_f64_e32 v[22:23], v[70:71], v[40:41]
	s_wait_loadcnt_dscnt 0x100
	v_mul_f64_e32 v[24:25], v[76:77], v[44:45]
	v_mul_f64_e32 v[40:41], v[74:75], v[44:45]
	s_wait_loadcnt 0x0
	v_mul_f64_e32 v[44:45], v[60:61], v[48:49]
	v_fma_f64 v[52:53], v[54:55], v[26:27], -v[78:79]
	v_fma_f64 v[26:27], v[56:57], v[26:27], v[28:29]
	v_mul_f64_e32 v[28:29], v[58:59], v[48:49]
	v_fma_f64 v[48:49], v[66:67], v[34:35], -v[82:83]
	v_fma_f64 v[34:35], v[68:69], v[34:35], v[36:37]
	v_fma_f64 v[36:37], v[70:71], v[38:39], -v[84:85]
	v_fma_f64 v[38:39], v[72:73], v[38:39], v[22:23]
	;; [unrolled: 2-line block ×5, first 2 shown]
	ds_load_b128 v[22:25], v17
	global_wb scope:SCOPE_SE
	s_wait_dscnt 0x0
	v_add_f64_e64 v[36:37], v[52:53], -v[36:37]
	s_barrier_signal -1
	s_barrier_wait -1
	global_inv scope:SCOPE_SE
	v_add_f64_e64 v[44:45], v[22:23], -v[48:49]
	v_add_f64_e64 v[34:35], v[24:25], -v[34:35]
	;; [unrolled: 1-line block ×7, first 2 shown]
	v_fma_f64 v[48:49], v[52:53], 2.0, -v[36:37]
	v_fma_f64 v[22:23], v[22:23], 2.0, -v[44:45]
	;; [unrolled: 1-line block ×3, first 2 shown]
	v_add_f64_e32 v[54:55], v[34:35], v[36:37]
	v_fma_f64 v[26:27], v[26:27], 2.0, -v[38:39]
	v_fma_f64 v[12:13], v[12:13], 2.0, -v[46:47]
	;; [unrolled: 1-line block ×3, first 2 shown]
	v_add_f64_e64 v[52:53], v[44:45], -v[38:39]
	v_fma_f64 v[36:37], v[42:43], 2.0, -v[32:33]
	v_fma_f64 v[30:31], v[30:31], 2.0, -v[28:29]
	v_add_f64_e64 v[38:39], v[46:47], -v[28:29]
	v_add_f64_e32 v[42:43], v[40:41], v[32:33]
	v_add_f64_e64 v[48:49], v[22:23], -v[48:49]
	v_fma_f64 v[60:61], v[34:35], 2.0, -v[54:55]
	v_add_f64_e64 v[56:57], v[24:25], -v[26:27]
	v_fma_f64 v[58:59], v[44:45], 2.0, -v[52:53]
	v_add_f64_e64 v[26:27], v[12:13], -v[36:37]
	v_add_f64_e64 v[28:29], v[50:51], -v[30:31]
	v_fma_f64 v[32:33], v[46:47], 2.0, -v[38:39]
	v_fma_f64 v[30:31], v[40:41], 2.0, -v[42:43]
	v_fma_f64 v[62:63], v[42:43], s[6:7], v[54:55]
	v_fma_f64 v[44:45], v[22:23], 2.0, -v[48:49]
	v_fma_f64 v[46:47], v[24:25], 2.0, -v[56:57]
	;; [unrolled: 1-line block ×4, first 2 shown]
	v_fma_f64 v[36:37], v[32:33], s[0:1], v[58:59]
	v_fma_f64 v[40:41], v[30:31], s[0:1], v[60:61]
	;; [unrolled: 1-line block ×3, first 2 shown]
	v_add_f64_e64 v[22:23], v[48:49], -v[28:29]
	v_add_f64_e32 v[24:25], v[56:57], v[26:27]
	v_add_f64_e64 v[26:27], v[44:45], -v[12:13]
	v_add_f64_e64 v[28:29], v[46:47], -v[34:35]
	v_fma_f64 v[30:31], v[30:31], s[0:1], v[36:37]
	v_fma_f64 v[32:33], v[32:33], s[6:7], v[40:41]
	;; [unrolled: 1-line block ×4, first 2 shown]
	v_fma_f64 v[38:39], v[48:49], 2.0, -v[22:23]
	v_fma_f64 v[40:41], v[56:57], 2.0, -v[24:25]
	v_cmp_ne_u32_e64 s0, 0, v15
                                        ; implicit-def: $vgpr13_vgpr14
                                        ; implicit-def: $vgpr11_vgpr12
	v_fma_f64 v[42:43], v[44:45], 2.0, -v[26:27]
	v_fma_f64 v[44:45], v[46:47], 2.0, -v[28:29]
	;; [unrolled: 1-line block ×6, first 2 shown]
	ds_store_b128 v1, v[42:45]
	ds_store_b128 v21, v[46:49]
	;; [unrolled: 1-line block ×8, first 2 shown]
	global_wb scope:SCOPE_SE
	s_wait_dscnt 0x0
	s_barrier_signal -1
	s_barrier_wait -1
	global_inv scope:SCOPE_SE
	ds_load_b128 v[0:3], v17
	v_sub_nc_u32_e32 v22, v18, v16
	s_and_saveexec_b32 s1, s0
	s_wait_alu 0xfffe
	s_xor_b32 s0, exec_lo, s1
	s_cbranch_execz .LBB0_6
; %bb.5:
	global_load_b128 v[23:26], v16, s[4:5] offset:1920
	ds_load_b128 v[10:13], v22 offset:2048
                                        ; implicit-def: $vgpr18
	s_wait_dscnt 0x0
	v_add_f64_e64 v[27:28], v[0:1], -v[10:11]
	v_add_f64_e32 v[29:30], v[2:3], v[12:13]
	v_add_f64_e64 v[2:3], v[2:3], -v[12:13]
	v_add_f64_e32 v[0:1], v[0:1], v[10:11]
	s_delay_alu instid0(VALU_DEP_4) | instskip(NEXT) | instid1(VALU_DEP_4)
	v_mul_f64_e32 v[12:13], 0.5, v[27:28]
	v_mul_f64_e32 v[27:28], 0.5, v[29:30]
	s_delay_alu instid0(VALU_DEP_4) | instskip(SKIP_1) | instid1(VALU_DEP_3)
	v_mul_f64_e32 v[2:3], 0.5, v[2:3]
	s_wait_loadcnt 0x0
	v_mul_f64_e32 v[10:11], v[12:13], v[25:26]
	s_delay_alu instid0(VALU_DEP_2) | instskip(SKIP_1) | instid1(VALU_DEP_3)
	v_fma_f64 v[29:30], v[27:28], v[25:26], v[2:3]
	v_fma_f64 v[2:3], v[27:28], v[25:26], -v[2:3]
	v_fma_f64 v[25:26], v[0:1], 0.5, v[10:11]
	v_fma_f64 v[0:1], v[0:1], 0.5, -v[10:11]
	s_delay_alu instid0(VALU_DEP_4) | instskip(NEXT) | instid1(VALU_DEP_4)
	v_fma_f64 v[29:30], -v[23:24], v[12:13], v[29:30]
	v_fma_f64 v[2:3], -v[23:24], v[12:13], v[2:3]
	ds_store_b64 v17, v[29:30] offset:8
	ds_store_b64 v22, v[2:3] offset:2056
	v_fma_f64 v[11:12], v[27:28], v[23:24], v[25:26]
	v_fma_f64 v[13:14], -v[27:28], v[23:24], v[0:1]
                                        ; implicit-def: $vgpr0_vgpr1
.LBB0_6:
	s_wait_alu 0xfffe
	s_and_not1_saveexec_b32 s0, s0
	s_cbranch_execz .LBB0_8
; %bb.7:
	s_wait_dscnt 0x0
	v_add_f64_e32 v[11:12], v[0:1], v[2:3]
	v_add_f64_e64 v[13:14], v[0:1], -v[2:3]
	s_mov_b32 s6, 0
	s_wait_alu 0xfffe
	s_mov_b32 s7, s6
	s_wait_alu 0xfffe
	v_dual_mov_b32 v0, s6 :: v_dual_mov_b32 v1, s7
	ds_store_b64 v17, v[0:1] offset:8
	ds_store_b64 v22, v[0:1] offset:2056
	ds_load_b64 v[0:1], v18 offset:1032
	s_wait_dscnt 0x0
	v_xor_b32_e32 v1, 0x80000000, v1
	ds_store_b64 v18, v[0:1] offset:1032
.LBB0_8:
	s_wait_alu 0xfffe
	s_or_b32 exec_lo, exec_lo, s0
	v_mov_b32_e32 v8, 0
	s_wait_dscnt 0x0
	s_delay_alu instid0(VALU_DEP_1) | instskip(SKIP_1) | instid1(VALU_DEP_1)
	v_lshlrev_b64_e32 v[0:1], 4, v[7:8]
	v_dual_mov_b32 v10, v8 :: v_dual_mov_b32 v7, v8
	v_lshlrev_b64_e32 v[9:10], 4, v[9:10]
	s_delay_alu instid0(VALU_DEP_3) | instskip(SKIP_1) | instid1(VALU_DEP_4)
	v_add_co_u32 v0, s0, s4, v0
	s_wait_alu 0xf1ff
	v_add_co_ci_u32_e64 v1, s0, s5, v1, s0
	v_lshlrev_b64_e32 v[6:7], 4, v[6:7]
	s_delay_alu instid0(VALU_DEP_4)
	v_add_co_u32 v9, s0, s4, v9
	global_load_b128 v[0:3], v[0:1], off offset:1920
	s_wait_alu 0xf1ff
	v_add_co_ci_u32_e64 v10, s0, s5, v10, s0
	v_add_co_u32 v6, s0, s4, v6
	s_wait_alu 0xf1ff
	v_add_co_ci_u32_e64 v7, s0, s5, v7, s0
	global_load_b128 v[23:26], v[9:10], off offset:1920
	ds_store_b64 v17, v[11:12]
	ds_store_b64 v22, v[13:14] offset:2048
	ds_load_b128 v[9:12], v21
	ds_load_b128 v[27:30], v22 offset:1792
	s_wait_dscnt 0x0
	v_add_f64_e64 v[13:14], v[9:10], -v[27:28]
	v_add_f64_e32 v[31:32], v[11:12], v[29:30]
	v_add_f64_e64 v[11:12], v[11:12], -v[29:30]
	v_add_f64_e32 v[9:10], v[9:10], v[27:28]
	s_delay_alu instid0(VALU_DEP_4) | instskip(NEXT) | instid1(VALU_DEP_4)
	v_mul_f64_e32 v[13:14], 0.5, v[13:14]
	v_mul_f64_e32 v[29:30], 0.5, v[31:32]
	s_delay_alu instid0(VALU_DEP_4) | instskip(SKIP_1) | instid1(VALU_DEP_3)
	v_mul_f64_e32 v[11:12], 0.5, v[11:12]
	s_wait_loadcnt 0x1
	v_mul_f64_e32 v[27:28], v[13:14], v[2:3]
	s_delay_alu instid0(VALU_DEP_2) | instskip(SKIP_1) | instid1(VALU_DEP_3)
	v_fma_f64 v[31:32], v[29:30], v[2:3], v[11:12]
	v_fma_f64 v[2:3], v[29:30], v[2:3], -v[11:12]
	v_fma_f64 v[11:12], v[9:10], 0.5, v[27:28]
	v_fma_f64 v[9:10], v[9:10], 0.5, -v[27:28]
	s_delay_alu instid0(VALU_DEP_4) | instskip(NEXT) | instid1(VALU_DEP_4)
	v_fma_f64 v[27:28], -v[0:1], v[13:14], v[31:32]
	v_fma_f64 v[2:3], -v[0:1], v[13:14], v[2:3]
	s_delay_alu instid0(VALU_DEP_4) | instskip(NEXT) | instid1(VALU_DEP_4)
	v_fma_f64 v[11:12], v[29:30], v[0:1], v[11:12]
	v_fma_f64 v[0:1], -v[29:30], v[0:1], v[9:10]
	global_load_b128 v[6:9], v[6:7], off offset:1920
	ds_store_2addr_b64 v21, v[11:12], v[27:28] offset1:1
	ds_store_b128 v22, v[0:3] offset:1792
	ds_load_b128 v[0:3], v20
	ds_load_b128 v[10:13], v22 offset:1536
	s_wait_dscnt 0x0
	v_add_f64_e64 v[27:28], v[0:1], -v[10:11]
	v_add_f64_e32 v[29:30], v[2:3], v[12:13]
	v_add_f64_e64 v[2:3], v[2:3], -v[12:13]
	v_add_f64_e32 v[0:1], v[0:1], v[10:11]
	s_delay_alu instid0(VALU_DEP_4) | instskip(NEXT) | instid1(VALU_DEP_4)
	v_mul_f64_e32 v[12:13], 0.5, v[27:28]
	v_mul_f64_e32 v[27:28], 0.5, v[29:30]
	s_delay_alu instid0(VALU_DEP_4) | instskip(SKIP_1) | instid1(VALU_DEP_3)
	v_mul_f64_e32 v[2:3], 0.5, v[2:3]
	s_wait_loadcnt 0x1
	v_mul_f64_e32 v[10:11], v[12:13], v[25:26]
	s_delay_alu instid0(VALU_DEP_2) | instskip(SKIP_1) | instid1(VALU_DEP_3)
	v_fma_f64 v[29:30], v[27:28], v[25:26], v[2:3]
	v_fma_f64 v[2:3], v[27:28], v[25:26], -v[2:3]
	v_fma_f64 v[25:26], v[0:1], 0.5, v[10:11]
	v_fma_f64 v[0:1], v[0:1], 0.5, -v[10:11]
	s_delay_alu instid0(VALU_DEP_4) | instskip(NEXT) | instid1(VALU_DEP_4)
	v_fma_f64 v[10:11], -v[23:24], v[12:13], v[29:30]
	v_fma_f64 v[2:3], -v[23:24], v[12:13], v[2:3]
	s_delay_alu instid0(VALU_DEP_4) | instskip(NEXT) | instid1(VALU_DEP_4)
	v_fma_f64 v[12:13], v[27:28], v[23:24], v[25:26]
	v_fma_f64 v[0:1], -v[27:28], v[23:24], v[0:1]
	ds_store_2addr_b64 v20, v[12:13], v[10:11] offset1:1
	ds_store_b128 v22, v[0:3] offset:1536
	ds_load_b128 v[0:3], v19
	ds_load_b128 v[10:13], v22 offset:1280
	s_wait_dscnt 0x0
	v_add_f64_e64 v[20:21], v[0:1], -v[10:11]
	v_add_f64_e32 v[23:24], v[2:3], v[12:13]
	v_add_f64_e64 v[2:3], v[2:3], -v[12:13]
	v_add_f64_e32 v[0:1], v[0:1], v[10:11]
	s_delay_alu instid0(VALU_DEP_4) | instskip(NEXT) | instid1(VALU_DEP_4)
	v_mul_f64_e32 v[12:13], 0.5, v[20:21]
	v_mul_f64_e32 v[20:21], 0.5, v[23:24]
	s_delay_alu instid0(VALU_DEP_4) | instskip(SKIP_1) | instid1(VALU_DEP_3)
	v_mul_f64_e32 v[2:3], 0.5, v[2:3]
	s_wait_loadcnt 0x0
	v_mul_f64_e32 v[10:11], v[12:13], v[8:9]
	s_delay_alu instid0(VALU_DEP_2) | instskip(SKIP_1) | instid1(VALU_DEP_3)
	v_fma_f64 v[23:24], v[20:21], v[8:9], v[2:3]
	v_fma_f64 v[2:3], v[20:21], v[8:9], -v[2:3]
	v_fma_f64 v[8:9], v[0:1], 0.5, v[10:11]
	v_fma_f64 v[0:1], v[0:1], 0.5, -v[10:11]
	s_delay_alu instid0(VALU_DEP_4) | instskip(NEXT) | instid1(VALU_DEP_4)
	v_fma_f64 v[10:11], -v[6:7], v[12:13], v[23:24]
	v_fma_f64 v[2:3], -v[6:7], v[12:13], v[2:3]
	s_delay_alu instid0(VALU_DEP_4) | instskip(NEXT) | instid1(VALU_DEP_4)
	v_fma_f64 v[8:9], v[20:21], v[6:7], v[8:9]
	v_fma_f64 v[0:1], -v[20:21], v[6:7], v[0:1]
	ds_store_2addr_b64 v19, v[8:9], v[10:11] offset1:1
	ds_store_b128 v22, v[0:3] offset:1280
	global_wb scope:SCOPE_SE
	s_wait_dscnt 0x0
	s_barrier_signal -1
	s_barrier_wait -1
	global_inv scope:SCOPE_SE
	s_and_saveexec_b32 s0, vcc_lo
	s_cbranch_execz .LBB0_11
; %bb.9:
	ds_load_b128 v[6:9], v17
	ds_load_b128 v[10:13], v17 offset:256
	ds_load_b128 v[18:21], v17 offset:512
	ds_load_b128 v[22:25], v17 offset:768
	ds_load_b128 v[26:29], v17 offset:1024
	ds_load_b128 v[30:33], v17 offset:1280
	ds_load_b128 v[34:37], v17 offset:1536
	ds_load_b128 v[38:41], v17 offset:1792
	v_add_co_u32 v0, vcc_lo, s2, v4
	v_add_co_ci_u32_e32 v1, vcc_lo, s3, v5, vcc_lo
	s_delay_alu instid0(VALU_DEP_2) | instskip(SKIP_1) | instid1(VALU_DEP_2)
	v_add_co_u32 v2, vcc_lo, v0, v16
	s_wait_alu 0xfffd
	v_add_co_ci_u32_e32 v3, vcc_lo, 0, v1, vcc_lo
	v_cmp_eq_u32_e32 vcc_lo, 15, v15
	s_wait_dscnt 0x7
	global_store_b128 v[2:3], v[6:9], off
	s_wait_dscnt 0x6
	global_store_b128 v[2:3], v[10:13], off offset:256
	s_wait_dscnt 0x5
	global_store_b128 v[2:3], v[18:21], off offset:512
	;; [unrolled: 2-line block ×7, first 2 shown]
	s_and_b32 exec_lo, exec_lo, vcc_lo
	s_cbranch_execz .LBB0_11
; %bb.10:
	ds_load_b128 v[2:5], v17 offset:1808
	s_wait_dscnt 0x0
	global_store_b128 v[0:1], v[2:5], off offset:2048
.LBB0_11:
	s_nop 0
	s_sendmsg sendmsg(MSG_DEALLOC_VGPRS)
	s_endpgm
	.section	.rodata,"a",@progbits
	.p2align	6, 0x0
	.amdhsa_kernel fft_rtc_fwd_len128_factors_8_2_8_wgs_128_tpt_16_dim1_dp_ip_CI_unitstride_sbrr_R2C_dirReg
		.amdhsa_group_segment_fixed_size 0
		.amdhsa_private_segment_fixed_size 0
		.amdhsa_kernarg_size 80
		.amdhsa_user_sgpr_count 2
		.amdhsa_user_sgpr_dispatch_ptr 0
		.amdhsa_user_sgpr_queue_ptr 0
		.amdhsa_user_sgpr_kernarg_segment_ptr 1
		.amdhsa_user_sgpr_dispatch_id 0
		.amdhsa_user_sgpr_private_segment_size 0
		.amdhsa_wavefront_size32 1
		.amdhsa_uses_dynamic_stack 0
		.amdhsa_enable_private_segment 0
		.amdhsa_system_sgpr_workgroup_id_x 1
		.amdhsa_system_sgpr_workgroup_id_y 0
		.amdhsa_system_sgpr_workgroup_id_z 0
		.amdhsa_system_sgpr_workgroup_info 0
		.amdhsa_system_vgpr_workitem_id 0
		.amdhsa_next_free_vgpr 86
		.amdhsa_next_free_sgpr 10
		.amdhsa_reserve_vcc 1
		.amdhsa_float_round_mode_32 0
		.amdhsa_float_round_mode_16_64 0
		.amdhsa_float_denorm_mode_32 3
		.amdhsa_float_denorm_mode_16_64 3
		.amdhsa_fp16_overflow 0
		.amdhsa_workgroup_processor_mode 1
		.amdhsa_memory_ordered 1
		.amdhsa_forward_progress 0
		.amdhsa_round_robin_scheduling 0
		.amdhsa_exception_fp_ieee_invalid_op 0
		.amdhsa_exception_fp_denorm_src 0
		.amdhsa_exception_fp_ieee_div_zero 0
		.amdhsa_exception_fp_ieee_overflow 0
		.amdhsa_exception_fp_ieee_underflow 0
		.amdhsa_exception_fp_ieee_inexact 0
		.amdhsa_exception_int_div_zero 0
	.end_amdhsa_kernel
	.text
.Lfunc_end0:
	.size	fft_rtc_fwd_len128_factors_8_2_8_wgs_128_tpt_16_dim1_dp_ip_CI_unitstride_sbrr_R2C_dirReg, .Lfunc_end0-fft_rtc_fwd_len128_factors_8_2_8_wgs_128_tpt_16_dim1_dp_ip_CI_unitstride_sbrr_R2C_dirReg
                                        ; -- End function
	.section	.AMDGPU.csdata,"",@progbits
; Kernel info:
; codeLenInByte = 3968
; NumSgprs: 12
; NumVgprs: 86
; ScratchSize: 0
; MemoryBound: 0
; FloatMode: 240
; IeeeMode: 1
; LDSByteSize: 0 bytes/workgroup (compile time only)
; SGPRBlocks: 1
; VGPRBlocks: 10
; NumSGPRsForWavesPerEU: 12
; NumVGPRsForWavesPerEU: 86
; Occupancy: 16
; WaveLimiterHint : 1
; COMPUTE_PGM_RSRC2:SCRATCH_EN: 0
; COMPUTE_PGM_RSRC2:USER_SGPR: 2
; COMPUTE_PGM_RSRC2:TRAP_HANDLER: 0
; COMPUTE_PGM_RSRC2:TGID_X_EN: 1
; COMPUTE_PGM_RSRC2:TGID_Y_EN: 0
; COMPUTE_PGM_RSRC2:TGID_Z_EN: 0
; COMPUTE_PGM_RSRC2:TIDIG_COMP_CNT: 0
	.text
	.p2alignl 7, 3214868480
	.fill 96, 4, 3214868480
	.type	__hip_cuid_bc9c64e48c2a8890,@object ; @__hip_cuid_bc9c64e48c2a8890
	.section	.bss,"aw",@nobits
	.globl	__hip_cuid_bc9c64e48c2a8890
__hip_cuid_bc9c64e48c2a8890:
	.byte	0                               ; 0x0
	.size	__hip_cuid_bc9c64e48c2a8890, 1

	.ident	"AMD clang version 19.0.0git (https://github.com/RadeonOpenCompute/llvm-project roc-6.4.0 25133 c7fe45cf4b819c5991fe208aaa96edf142730f1d)"
	.section	".note.GNU-stack","",@progbits
	.addrsig
	.addrsig_sym __hip_cuid_bc9c64e48c2a8890
	.amdgpu_metadata
---
amdhsa.kernels:
  - .args:
      - .actual_access:  read_only
        .address_space:  global
        .offset:         0
        .size:           8
        .value_kind:     global_buffer
      - .actual_access:  read_only
        .address_space:  global
        .offset:         8
        .size:           8
        .value_kind:     global_buffer
      - .actual_access:  read_only
        .address_space:  global
        .offset:         16
        .size:           8
        .value_kind:     global_buffer
      - .offset:         24
        .size:           8
        .value_kind:     by_value
      - .actual_access:  read_only
        .address_space:  global
        .offset:         32
        .size:           8
        .value_kind:     global_buffer
      - .actual_access:  read_only
        .address_space:  global
        .offset:         40
        .size:           8
        .value_kind:     global_buffer
      - .offset:         48
        .size:           4
        .value_kind:     by_value
      - .actual_access:  read_only
        .address_space:  global
        .offset:         56
        .size:           8
        .value_kind:     global_buffer
      - .actual_access:  read_only
        .address_space:  global
        .offset:         64
        .size:           8
        .value_kind:     global_buffer
      - .address_space:  global
        .offset:         72
        .size:           8
        .value_kind:     global_buffer
    .group_segment_fixed_size: 0
    .kernarg_segment_align: 8
    .kernarg_segment_size: 80
    .language:       OpenCL C
    .language_version:
      - 2
      - 0
    .max_flat_workgroup_size: 128
    .name:           fft_rtc_fwd_len128_factors_8_2_8_wgs_128_tpt_16_dim1_dp_ip_CI_unitstride_sbrr_R2C_dirReg
    .private_segment_fixed_size: 0
    .sgpr_count:     12
    .sgpr_spill_count: 0
    .symbol:         fft_rtc_fwd_len128_factors_8_2_8_wgs_128_tpt_16_dim1_dp_ip_CI_unitstride_sbrr_R2C_dirReg.kd
    .uniform_work_group_size: 1
    .uses_dynamic_stack: false
    .vgpr_count:     86
    .vgpr_spill_count: 0
    .wavefront_size: 32
    .workgroup_processor_mode: 1
amdhsa.target:   amdgcn-amd-amdhsa--gfx1201
amdhsa.version:
  - 1
  - 2
...

	.end_amdgpu_metadata
